;; amdgpu-corpus repo=ROCm/rocFFT kind=compiled arch=gfx1030 opt=O3
	.text
	.amdgcn_target "amdgcn-amd-amdhsa--gfx1030"
	.amdhsa_code_object_version 6
	.protected	fft_rtc_fwd_len429_factors_13_3_11_wgs_117_tpt_39_sp_op_CI_CI_sbrr_dirReg ; -- Begin function fft_rtc_fwd_len429_factors_13_3_11_wgs_117_tpt_39_sp_op_CI_CI_sbrr_dirReg
	.globl	fft_rtc_fwd_len429_factors_13_3_11_wgs_117_tpt_39_sp_op_CI_CI_sbrr_dirReg
	.p2align	8
	.type	fft_rtc_fwd_len429_factors_13_3_11_wgs_117_tpt_39_sp_op_CI_CI_sbrr_dirReg,@function
fft_rtc_fwd_len429_factors_13_3_11_wgs_117_tpt_39_sp_op_CI_CI_sbrr_dirReg: ; @fft_rtc_fwd_len429_factors_13_3_11_wgs_117_tpt_39_sp_op_CI_CI_sbrr_dirReg
; %bb.0:
	s_clause 0x1
	s_load_dwordx4 s[16:19], s[4:5], 0x18
	s_load_dwordx4 s[12:15], s[4:5], 0x0
	v_mul_u32_u24_e32 v1, 0x691, v0
	v_mov_b32_e32 v20, 0
	v_mov_b32_e32 v21, 0
	v_mov_b32_e32 v16, v20
	s_load_dwordx4 s[8:11], s[4:5], 0x58
	s_waitcnt lgkmcnt(0)
	s_load_dwordx2 s[20:21], s[16:17], 0x0
	s_load_dwordx2 s[2:3], s[18:19], 0x0
	v_lshrrev_b32_e32 v2, 16, v1
	v_mov_b32_e32 v1, 0
	v_cmp_lt_u64_e64 s0, s[14:15], 2
	v_mov_b32_e32 v17, v21
	v_mad_u64_u32 v[4:5], null, s6, 3, v[2:3]
	v_mov_b32_e32 v5, v1
	s_and_b32 vcc_lo, exec_lo, s0
	v_mov_b32_e32 v19, v5
	v_mov_b32_e32 v18, v4
	s_cbranch_vccnz .LBB0_8
; %bb.1:
	s_load_dwordx2 s[0:1], s[4:5], 0x10
	v_mov_b32_e32 v20, 0
	v_mov_b32_e32 v21, 0
	s_add_u32 s6, s18, 8
	v_mov_b32_e32 v6, v5
	s_addc_u32 s7, s19, 0
	v_mov_b32_e32 v16, v20
	v_mov_b32_e32 v5, v4
	s_add_u32 s22, s16, 8
	v_mov_b32_e32 v17, v21
	s_addc_u32 s23, s17, 0
	s_mov_b64 s[26:27], 1
	s_waitcnt lgkmcnt(0)
	s_add_u32 s24, s0, 8
	s_addc_u32 s25, s1, 0
.LBB0_2:                                ; =>This Inner Loop Header: Depth=1
	s_load_dwordx2 s[28:29], s[24:25], 0x0
                                        ; implicit-def: $vgpr18_vgpr19
	s_mov_b32 s0, exec_lo
	s_waitcnt lgkmcnt(0)
	v_or_b32_e32 v2, s29, v6
	v_cmpx_ne_u64_e32 0, v[1:2]
	s_xor_b32 s1, exec_lo, s0
	s_cbranch_execz .LBB0_4
; %bb.3:                                ;   in Loop: Header=BB0_2 Depth=1
	v_cvt_f32_u32_e32 v2, s28
	v_cvt_f32_u32_e32 v3, s29
	s_sub_u32 s0, 0, s28
	s_subb_u32 s30, 0, s29
	v_fmac_f32_e32 v2, 0x4f800000, v3
	v_rcp_f32_e32 v2, v2
	v_mul_f32_e32 v2, 0x5f7ffffc, v2
	v_mul_f32_e32 v3, 0x2f800000, v2
	v_trunc_f32_e32 v3, v3
	v_fmac_f32_e32 v2, 0xcf800000, v3
	v_cvt_u32_f32_e32 v3, v3
	v_cvt_u32_f32_e32 v2, v2
	v_mul_lo_u32 v7, s0, v3
	v_mul_hi_u32 v8, s0, v2
	v_mul_lo_u32 v9, s30, v2
	v_add_nc_u32_e32 v7, v8, v7
	v_mul_lo_u32 v8, s0, v2
	v_add_nc_u32_e32 v7, v7, v9
	v_mul_hi_u32 v9, v2, v8
	v_mul_lo_u32 v10, v2, v7
	v_mul_hi_u32 v11, v2, v7
	v_mul_hi_u32 v12, v3, v8
	v_mul_lo_u32 v8, v3, v8
	v_mul_hi_u32 v13, v3, v7
	v_mul_lo_u32 v7, v3, v7
	v_add_co_u32 v9, vcc_lo, v9, v10
	v_add_co_ci_u32_e32 v10, vcc_lo, 0, v11, vcc_lo
	v_add_co_u32 v8, vcc_lo, v9, v8
	v_add_co_ci_u32_e32 v8, vcc_lo, v10, v12, vcc_lo
	v_add_co_ci_u32_e32 v9, vcc_lo, 0, v13, vcc_lo
	v_add_co_u32 v7, vcc_lo, v8, v7
	v_add_co_ci_u32_e32 v8, vcc_lo, 0, v9, vcc_lo
	v_add_co_u32 v2, vcc_lo, v2, v7
	v_add_co_ci_u32_e32 v3, vcc_lo, v3, v8, vcc_lo
	v_mul_hi_u32 v7, s0, v2
	v_mul_lo_u32 v9, s30, v2
	v_mul_lo_u32 v8, s0, v3
	v_add_nc_u32_e32 v7, v7, v8
	v_mul_lo_u32 v8, s0, v2
	v_add_nc_u32_e32 v7, v7, v9
	v_mul_hi_u32 v9, v2, v8
	v_mul_lo_u32 v10, v2, v7
	v_mul_hi_u32 v11, v2, v7
	v_mul_hi_u32 v12, v3, v8
	v_mul_lo_u32 v8, v3, v8
	v_mul_hi_u32 v13, v3, v7
	v_mul_lo_u32 v7, v3, v7
	v_add_co_u32 v9, vcc_lo, v9, v10
	v_add_co_ci_u32_e32 v10, vcc_lo, 0, v11, vcc_lo
	v_add_co_u32 v8, vcc_lo, v9, v8
	v_add_co_ci_u32_e32 v8, vcc_lo, v10, v12, vcc_lo
	v_add_co_ci_u32_e32 v9, vcc_lo, 0, v13, vcc_lo
	v_add_co_u32 v7, vcc_lo, v8, v7
	v_add_co_ci_u32_e32 v8, vcc_lo, 0, v9, vcc_lo
	v_add_co_u32 v7, vcc_lo, v2, v7
	v_add_co_ci_u32_e32 v9, vcc_lo, v3, v8, vcc_lo
	v_mul_hi_u32 v11, v5, v7
	v_mad_u64_u32 v[7:8], null, v6, v7, 0
	v_mad_u64_u32 v[2:3], null, v5, v9, 0
	v_mad_u64_u32 v[9:10], null, v6, v9, 0
	v_add_co_u32 v2, vcc_lo, v11, v2
	v_add_co_ci_u32_e32 v3, vcc_lo, 0, v3, vcc_lo
	v_add_co_u32 v2, vcc_lo, v2, v7
	v_add_co_ci_u32_e32 v2, vcc_lo, v3, v8, vcc_lo
	v_add_co_ci_u32_e32 v3, vcc_lo, 0, v10, vcc_lo
	v_add_co_u32 v7, vcc_lo, v2, v9
	v_add_co_ci_u32_e32 v8, vcc_lo, 0, v3, vcc_lo
	v_mul_lo_u32 v9, s29, v7
	v_mad_u64_u32 v[2:3], null, s28, v7, 0
	v_mul_lo_u32 v10, s28, v8
	v_sub_co_u32 v2, vcc_lo, v5, v2
	v_add3_u32 v3, v3, v10, v9
	v_sub_nc_u32_e32 v9, v6, v3
	v_subrev_co_ci_u32_e64 v9, s0, s29, v9, vcc_lo
	v_add_co_u32 v10, s0, v7, 2
	v_add_co_ci_u32_e64 v11, s0, 0, v8, s0
	v_sub_co_u32 v12, s0, v2, s28
	v_sub_co_ci_u32_e32 v3, vcc_lo, v6, v3, vcc_lo
	v_subrev_co_ci_u32_e64 v9, s0, 0, v9, s0
	v_cmp_le_u32_e32 vcc_lo, s28, v12
	v_cmp_eq_u32_e64 s0, s29, v3
	v_cndmask_b32_e64 v12, 0, -1, vcc_lo
	v_cmp_le_u32_e32 vcc_lo, s29, v9
	v_cndmask_b32_e64 v13, 0, -1, vcc_lo
	v_cmp_le_u32_e32 vcc_lo, s28, v2
	;; [unrolled: 2-line block ×3, first 2 shown]
	v_cndmask_b32_e64 v14, 0, -1, vcc_lo
	v_cmp_eq_u32_e32 vcc_lo, s29, v9
	v_cndmask_b32_e64 v2, v14, v2, s0
	v_cndmask_b32_e32 v9, v13, v12, vcc_lo
	v_add_co_u32 v12, vcc_lo, v7, 1
	v_add_co_ci_u32_e32 v13, vcc_lo, 0, v8, vcc_lo
	v_cmp_ne_u32_e32 vcc_lo, 0, v9
	v_cndmask_b32_e32 v3, v13, v11, vcc_lo
	v_cndmask_b32_e32 v9, v12, v10, vcc_lo
	v_cmp_ne_u32_e32 vcc_lo, 0, v2
	v_cndmask_b32_e32 v19, v8, v3, vcc_lo
	v_cndmask_b32_e32 v18, v7, v9, vcc_lo
.LBB0_4:                                ;   in Loop: Header=BB0_2 Depth=1
	s_andn2_saveexec_b32 s0, s1
	s_cbranch_execz .LBB0_6
; %bb.5:                                ;   in Loop: Header=BB0_2 Depth=1
	v_cvt_f32_u32_e32 v2, s28
	s_sub_i32 s1, 0, s28
	v_mov_b32_e32 v19, v1
	v_rcp_iflag_f32_e32 v2, v2
	v_mul_f32_e32 v2, 0x4f7ffffe, v2
	v_cvt_u32_f32_e32 v2, v2
	v_mul_lo_u32 v3, s1, v2
	v_mul_hi_u32 v3, v2, v3
	v_add_nc_u32_e32 v2, v2, v3
	v_mul_hi_u32 v2, v5, v2
	v_mul_lo_u32 v3, v2, s28
	v_add_nc_u32_e32 v7, 1, v2
	v_sub_nc_u32_e32 v3, v5, v3
	v_subrev_nc_u32_e32 v8, s28, v3
	v_cmp_le_u32_e32 vcc_lo, s28, v3
	v_cndmask_b32_e32 v3, v3, v8, vcc_lo
	v_cndmask_b32_e32 v2, v2, v7, vcc_lo
	v_cmp_le_u32_e32 vcc_lo, s28, v3
	v_add_nc_u32_e32 v7, 1, v2
	v_cndmask_b32_e32 v18, v2, v7, vcc_lo
.LBB0_6:                                ;   in Loop: Header=BB0_2 Depth=1
	s_or_b32 exec_lo, exec_lo, s0
	v_mul_lo_u32 v7, v19, s28
	v_mul_lo_u32 v8, v18, s29
	s_load_dwordx2 s[0:1], s[22:23], 0x0
	v_mad_u64_u32 v[2:3], null, v18, s28, 0
	s_load_dwordx2 s[28:29], s[6:7], 0x0
	s_add_u32 s26, s26, 1
	s_addc_u32 s27, s27, 0
	s_add_u32 s6, s6, 8
	s_addc_u32 s7, s7, 0
	s_add_u32 s22, s22, 8
	v_add3_u32 v3, v3, v8, v7
	v_sub_co_u32 v2, vcc_lo, v5, v2
	s_addc_u32 s23, s23, 0
	s_add_u32 s24, s24, 8
	v_sub_co_ci_u32_e32 v3, vcc_lo, v6, v3, vcc_lo
	s_addc_u32 s25, s25, 0
	s_waitcnt lgkmcnt(0)
	v_mul_lo_u32 v5, s0, v3
	v_mul_lo_u32 v6, s1, v2
	v_mad_u64_u32 v[20:21], null, s0, v2, v[20:21]
	v_mul_lo_u32 v3, s28, v3
	v_mul_lo_u32 v7, s29, v2
	v_mad_u64_u32 v[16:17], null, s28, v2, v[16:17]
	v_cmp_ge_u64_e64 s0, s[26:27], s[14:15]
	v_add3_u32 v21, v6, v21, v5
	v_add3_u32 v17, v7, v17, v3
	s_and_b32 vcc_lo, exec_lo, s0
	s_cbranch_vccnz .LBB0_8
; %bb.7:                                ;   in Loop: Header=BB0_2 Depth=1
	v_mov_b32_e32 v5, v18
	v_mov_b32_e32 v6, v19
	s_branch .LBB0_2
.LBB0_8:
	s_load_dwordx2 s[0:1], s[4:5], 0x28
	s_lshl_b64 s[6:7], s[14:15], 3
	v_mul_hi_u32 v1, 0x6906907, v0
	s_add_u32 s4, s18, s6
	s_addc_u32 s5, s19, s7
	v_mov_b32_e32 v38, 0
	s_load_dwordx2 s[4:5], s[4:5], 0x0
                                        ; implicit-def: $vgpr8
                                        ; implicit-def: $vgpr6
                                        ; implicit-def: $vgpr3
                                        ; implicit-def: $vgpr31
                                        ; implicit-def: $vgpr29
                                        ; implicit-def: $vgpr14
                                        ; implicit-def: $vgpr10
                                        ; implicit-def: $vgpr12
                                        ; implicit-def: $vgpr33
                                        ; implicit-def: $vgpr35
                                        ; implicit-def: $vgpr37
                                        ; implicit-def: $vgpr27
	v_mul_u32_u24_e32 v2, 39, v1
	v_mov_b32_e32 v1, 0
	v_sub_nc_u32_e32 v39, v0, v2
	v_mov_b32_e32 v0, 0
	s_waitcnt lgkmcnt(0)
	v_cmp_gt_u64_e32 vcc_lo, s[0:1], v[18:19]
	s_and_saveexec_b32 s1, vcc_lo
	s_cbranch_execz .LBB0_12
; %bb.9:
	v_mov_b32_e32 v0, 0
	v_mov_b32_e32 v1, 0
	s_mov_b32 s14, exec_lo
                                        ; implicit-def: $vgpr26
                                        ; implicit-def: $vgpr36
                                        ; implicit-def: $vgpr34
                                        ; implicit-def: $vgpr32
                                        ; implicit-def: $vgpr11
                                        ; implicit-def: $vgpr9
                                        ; implicit-def: $vgpr13
                                        ; implicit-def: $vgpr28
                                        ; implicit-def: $vgpr30
                                        ; implicit-def: $vgpr2
                                        ; implicit-def: $vgpr5
                                        ; implicit-def: $vgpr7
	v_cmpx_gt_u32_e32 33, v39
	s_cbranch_execz .LBB0_11
; %bb.10:
	s_add_u32 s6, s16, s6
	s_addc_u32 s7, s17, s7
	v_lshlrev_b64 v[2:3], 3, v[20:21]
	s_load_dwordx2 s[6:7], s[6:7], 0x0
	v_add_nc_u32_e32 v20, 33, v39
	v_add_nc_u32_e32 v22, 0x42, v39
	v_mad_u64_u32 v[0:1], null, s20, v39, 0
	v_add_nc_u32_e32 v23, 0x63, v39
	v_mad_u64_u32 v[5:6], null, s20, v20, 0
	v_mad_u64_u32 v[7:8], null, s20, v22, 0
	;; [unrolled: 1-line block ×4, first 2 shown]
	v_mov_b32_e32 v1, v6
	v_add_nc_u32_e32 v24, 0x84, v39
	v_mov_b32_e32 v6, v8
	v_add_nc_u32_e32 v26, 0x108, v39
	;; [unrolled: 2-line block ×3, first 2 shown]
	s_waitcnt lgkmcnt(0)
	v_mul_lo_u32 v21, s7, v18
	v_mul_lo_u32 v25, s6, v19
	v_mad_u64_u32 v[11:12], null, s6, v18, 0
	v_mad_u64_u32 v[14:15], null, s20, v24, 0
	v_add_nc_u32_e32 v29, 0x14a, v39
	v_add_nc_u32_e32 v40, 0x16b, v39
	;; [unrolled: 1-line block ×3, first 2 shown]
	v_add3_u32 v12, v12, v25, v21
	v_mad_u64_u32 v[20:21], null, s21, v20, v[1:2]
	v_mad_u64_u32 v[21:22], null, s21, v22, v[6:7]
	v_lshlrev_b64 v[10:11], 3, v[11:12]
	v_mov_b32_e32 v1, v13
	v_mad_u64_u32 v[12:13], null, s21, v23, v[8:9]
	v_mov_b32_e32 v6, v20
	v_add_nc_u32_e32 v13, 0xa5, v39
	v_add_co_u32 v10, s0, s8, v10
	v_add_co_ci_u32_e64 v11, s0, s9, v11, s0
	v_mov_b32_e32 v8, v21
	v_add_co_u32 v42, s0, v10, v2
	v_lshlrev_b64 v[0:1], 3, v[0:1]
	v_add_co_ci_u32_e64 v43, s0, v11, v3, s0
	v_lshlrev_b64 v[2:3], 3, v[5:6]
	v_lshlrev_b64 v[6:7], 3, v[7:8]
	v_mov_b32_e32 v10, v12
	v_mov_b32_e32 v5, v15
	v_add_co_u32 v0, s0, v42, v0
	v_add_co_ci_u32_e64 v1, s0, v43, v1, s0
	v_lshlrev_b64 v[8:9], 3, v[9:10]
	v_mad_u64_u32 v[10:11], null, s21, v24, v[5:6]
	v_mad_u64_u32 v[11:12], null, s20, v13, 0
	v_add_co_u32 v2, s0, v42, v2
	v_add_co_ci_u32_e64 v3, s0, v43, v3, s0
	v_add_co_u32 v5, s0, v42, v6
	v_add_nc_u32_e32 v22, 0xc6, v39
	v_add_co_ci_u32_e64 v6, s0, v43, v7, s0
	v_add_co_u32 v20, s0, v42, v8
	v_mov_b32_e32 v7, v12
	v_add_nc_u32_e32 v24, 0xe7, v39
	v_add_co_ci_u32_e64 v21, s0, v43, v9, s0
	v_mov_b32_e32 v15, v10
	v_mad_u64_u32 v[9:10], null, s20, v22, 0
	v_mad_u64_u32 v[12:13], null, s21, v13, v[7:8]
	s_clause 0x3
	global_load_dwordx2 v[0:1], v[0:1], off
	global_load_dwordx2 v[7:8], v[2:3], off
	;; [unrolled: 1-line block ×4, first 2 shown]
	v_mad_u64_u32 v[20:21], null, s20, v24, 0
	v_lshlrev_b64 v[13:14], 3, v[14:15]
	v_mad_u64_u32 v[22:23], null, s21, v22, v[10:11]
	v_lshlrev_b64 v[11:12], 3, v[11:12]
	v_mad_u64_u32 v[32:33], null, s20, v29, 0
	v_mov_b32_e32 v15, v21
	v_add_co_u32 v13, s0, v42, v13
	v_mov_b32_e32 v10, v22
	v_add_co_ci_u32_e64 v14, s0, v43, v14, s0
	v_mad_u64_u32 v[21:22], null, s21, v24, v[15:16]
	v_mad_u64_u32 v[22:23], null, s20, v26, 0
	;; [unrolled: 1-line block ×3, first 2 shown]
	v_lshlrev_b64 v[9:10], 3, v[9:10]
	v_add_co_u32 v11, s0, v42, v11
	v_lshlrev_b64 v[20:21], 3, v[20:21]
	v_mov_b32_e32 v15, v23
	v_add_co_ci_u32_e64 v12, s0, v43, v12, s0
	v_add_co_u32 v9, s0, v42, v9
	v_mad_u64_u32 v[26:27], null, s21, v26, v[15:16]
	v_mov_b32_e32 v15, v25
	v_mad_u64_u32 v[34:35], null, s20, v40, 0
	v_add_co_ci_u32_e64 v10, s0, v43, v10, s0
	v_add_co_u32 v20, s0, v42, v20
	v_mov_b32_e32 v23, v26
	v_mad_u64_u32 v[25:26], null, s21, v28, v[15:16]
	v_mov_b32_e32 v15, v33
	v_add_co_ci_u32_e64 v21, s0, v43, v21, s0
	v_mad_u64_u32 v[36:37], null, s21, v29, v[15:16]
	v_mad_u64_u32 v[37:38], null, s20, v41, 0
	s_clause 0x3
	global_load_dwordx2 v[30:31], v[13:14], off
	global_load_dwordx2 v[28:29], v[11:12], off
	;; [unrolled: 1-line block ×4, first 2 shown]
	v_lshlrev_b64 v[10:11], 3, v[22:23]
	v_mov_b32_e32 v9, v35
	v_mov_b32_e32 v33, v36
	v_mad_u64_u32 v[20:21], null, s21, v40, v[9:10]
	v_mov_b32_e32 v9, v38
	v_add_co_u32 v10, s0, v42, v10
	v_lshlrev_b64 v[21:22], 3, v[24:25]
	v_add_co_ci_u32_e64 v11, s0, v43, v11, s0
	v_mad_u64_u32 v[23:24], null, s21, v41, v[9:10]
	v_lshlrev_b64 v[24:25], 3, v[32:33]
	v_mov_b32_e32 v35, v20
	v_add_co_u32 v20, s0, v42, v21
	v_add_co_ci_u32_e64 v21, s0, v43, v22, s0
	v_mov_b32_e32 v38, v23
	v_lshlrev_b64 v[32:33], 3, v[34:35]
	v_add_co_u32 v22, s0, v42, v24
	v_add_co_ci_u32_e64 v23, s0, v43, v25, s0
	v_lshlrev_b64 v[24:25], 3, v[37:38]
	v_add_co_u32 v40, s0, v42, v32
	v_add_co_ci_u32_e64 v41, s0, v43, v33, s0
	v_add_co_u32 v24, s0, v42, v24
	v_add_co_ci_u32_e64 v25, s0, v43, v25, s0
	s_clause 0x4
	global_load_dwordx2 v[36:37], v[10:11], off
	global_load_dwordx2 v[34:35], v[20:21], off
	;; [unrolled: 1-line block ×5, first 2 shown]
.LBB0_11:
	s_or_b32 exec_lo, exec_lo, s14
	v_mov_b32_e32 v38, v39
.LBB0_12:
	s_or_b32 exec_lo, exec_lo, s1
	s_waitcnt vmcnt(0)
	v_add_f32_e32 v51, v7, v9
	v_sub_f32_e32 v55, v7, v9
	v_sub_f32_e32 v15, v8, v10
	v_add_f32_e32 v52, v5, v11
	v_add_f32_e32 v41, v8, v10
	v_mul_f32_e32 v58, 0x3f116cb1, v51
	v_mul_f32_e32 v64, 0xbf52af12, v55
	v_sub_f32_e32 v56, v5, v11
	v_sub_f32_e32 v42, v6, v12
	v_mul_f32_e32 v61, 0xbeb58ec6, v52
	v_fmamk_f32 v21, v15, 0xbf52af12, v58
	v_add_f32_e32 v53, v2, v32
	v_add_f32_e32 v43, v6, v12
	v_fma_f32 v22, 0x3f116cb1, v41, -v64
	v_mul_f32_e32 v68, 0xbf6f5d39, v56
	v_add_f32_e32 v21, v0, v21
	v_fmamk_f32 v23, v42, 0xbf6f5d39, v61
	v_sub_f32_e32 v44, v3, v33
	v_mul_f32_e32 v65, 0xbf788fa5, v53
	v_add_f32_e32 v54, v30, v34
	v_add_f32_e32 v22, v1, v22
	v_fma_f32 v24, 0xbeb58ec6, v43, -v68
	v_add_f32_e32 v21, v21, v23
	v_sub_f32_e32 v62, v2, v32
	v_fmamk_f32 v23, v44, 0xbe750f2a, v65
	v_sub_f32_e32 v46, v31, v35
	v_mul_f32_e32 v66, 0xbf3f9e67, v54
	v_add_f32_e32 v57, v28, v36
	v_mul_hi_u32 v20, 0xaaaaaaab, v4
	v_add_f32_e32 v22, v22, v24
	v_add_f32_e32 v45, v3, v33
	v_mul_f32_e32 v70, 0xbe750f2a, v62
	v_add_f32_e32 v21, v21, v23
	v_sub_f32_e32 v59, v30, v34
	v_fmamk_f32 v24, v46, 0x3f29c268, v66
	v_sub_f32_e32 v47, v29, v37
	v_mul_f32_e32 v69, 0x3df6dbef, v57
	v_add_f32_e32 v60, v13, v26
	v_lshrrev_b32_e32 v20, 1, v20
	v_fma_f32 v23, 0xbf788fa5, v45, -v70
	v_add_f32_e32 v48, v31, v35
	v_mul_f32_e32 v71, 0x3f29c268, v59
	v_sub_f32_e32 v63, v28, v36
	v_add_f32_e32 v21, v21, v24
	v_fmamk_f32 v24, v47, 0x3f7e222b, v69
	v_sub_f32_e32 v49, v14, v27
	v_mul_f32_e32 v72, 0x3f62ad3f, v60
	v_add_f32_e32 v22, v22, v23
	v_fma_f32 v23, 0xbf3f9e67, v48, -v71
	v_add_f32_e32 v50, v29, v37
	v_mul_f32_e32 v73, 0x3f7e222b, v63
	v_lshl_add_u32 v20, v20, 1, v20
	v_add_f32_e32 v21, v21, v24
	v_fmamk_f32 v24, v49, 0x3eedf032, v72
	v_mul_f32_e32 v76, 0x3df6dbef, v51
	v_add_f32_e32 v22, v22, v23
	v_fma_f32 v23, 0x3df6dbef, v50, -v73
	v_sub_nc_u32_e32 v25, v4, v20
	v_add_f32_e32 v20, v21, v24
	v_fmamk_f32 v21, v15, 0xbf7e222b, v76
	v_mul_f32_e32 v75, 0xbf788fa5, v52
	v_mul_f32_e32 v85, 0xbf7e222b, v55
	v_add_f32_e32 v22, v22, v23
	v_sub_f32_e32 v67, v13, v26
	v_add_f32_e32 v21, v0, v21
	v_fmamk_f32 v23, v42, 0xbe750f2a, v75
	v_fma_f32 v24, 0x3df6dbef, v41, -v85
	v_mul_f32_e32 v82, 0xbe750f2a, v56
	v_mul_f32_e32 v77, 0xbeb58ec6, v53
	v_add_f32_e32 v4, v14, v27
	v_mul_f32_e32 v74, 0x3eedf032, v67
	v_add_f32_e32 v21, v21, v23
	v_add_f32_e32 v23, v1, v24
	v_fma_f32 v24, 0xbf788fa5, v43, -v82
	v_fmamk_f32 v40, v44, 0x3f6f5d39, v77
	v_mul_f32_e32 v81, 0x3f6f5d39, v62
	v_mul_f32_e32 v79, 0x3f62ad3f, v54
	v_fma_f32 v80, 0x3f62ad3f, v4, -v74
	v_add_f32_e32 v23, v23, v24
	v_add_f32_e32 v24, v21, v40
	v_fma_f32 v40, 0xbeb58ec6, v45, -v81
	v_mul_f32_e32 v83, 0x3eedf032, v59
	v_fmamk_f32 v84, v46, 0x3eedf032, v79
	v_mul_f32_e32 v78, 0x3f116cb1, v57
	v_add_f32_e32 v21, v22, v80
	v_add_f32_e32 v22, v23, v40
	v_fma_f32 v23, 0x3f62ad3f, v48, -v83
	v_add_f32_e32 v24, v24, v84
	v_fmamk_f32 v40, v47, 0xbf52af12, v78
	v_mul_f32_e32 v84, 0xbf52af12, v63
	v_mul_f32_e32 v88, 0xbeb58ec6, v51
	;; [unrolled: 1-line block ×3, first 2 shown]
	v_add_f32_e32 v22, v22, v23
	v_add_f32_e32 v23, v24, v40
	v_fma_f32 v24, 0x3f116cb1, v50, -v84
	v_fmamk_f32 v40, v15, 0xbf6f5d39, v88
	v_mul_f32_e32 v90, 0xbf3f9e67, v52
	v_fma_f32 v80, 0xbeb58ec6, v41, -v97
	v_mul_f32_e32 v98, 0x3f29c268, v56
	v_add_f32_e32 v22, v22, v24
	v_add_f32_e32 v24, v0, v40
	v_fmamk_f32 v40, v42, 0x3f29c268, v90
	v_add_f32_e32 v86, v1, v80
	v_fma_f32 v87, 0xbf3f9e67, v43, -v98
	v_mul_f32_e32 v91, 0x3f62ad3f, v53
	v_mul_f32_e32 v94, 0x3eedf032, v62
	v_add_f32_e32 v24, v24, v40
	v_mul_f32_e32 v92, 0x3df6dbef, v54
	v_add_f32_e32 v40, v86, v87
	v_fmamk_f32 v86, v44, 0x3eedf032, v91
	v_fma_f32 v87, 0x3f62ad3f, v45, -v94
	v_mul_f32_e32 v95, 0xbf7e222b, v59
	v_mul_f32_e32 v80, 0xbf3f9e67, v60
	;; [unrolled: 1-line block ×3, first 2 shown]
	v_add_f32_e32 v24, v24, v86
	v_add_f32_e32 v40, v40, v87
	v_fmamk_f32 v87, v46, 0xbf7e222b, v92
	v_fma_f32 v93, 0x3df6dbef, v48, -v95
	v_mul_f32_e32 v96, 0x3e750f2a, v63
	v_fmamk_f32 v99, v49, 0xbf29c268, v80
	v_mul_f32_e32 v86, 0xbf29c268, v67
	v_add_f32_e32 v24, v24, v87
	v_add_f32_e32 v40, v40, v93
	v_fmamk_f32 v100, v47, 0x3e750f2a, v89
	v_fma_f32 v101, 0xbf788fa5, v50, -v96
	v_mul_f32_e32 v87, 0x3f116cb1, v60
	v_mul_f32_e32 v93, 0x3f52af12, v67
	v_fma_f32 v102, 0xbf3f9e67, v4, -v86
	v_add_f32_e32 v100, v24, v100
	v_add_f32_e32 v40, v40, v101
	v_fmamk_f32 v101, v49, 0x3f52af12, v87
	v_fma_f32 v103, 0x3f116cb1, v4, -v93
	v_add_f32_e32 v24, v23, v99
	v_mul_u32_u24_e32 v99, 0x1ad, v25
	v_add_f32_e32 v25, v22, v102
	v_add_f32_e32 v22, v100, v101
	;; [unrolled: 1-line block ×3, first 2 shown]
	s_mov_b32 s1, exec_lo
	v_lshlrev_b32_e32 v40, 3, v99
	v_cmpx_gt_u32_e32 33, v39
	s_cbranch_execz .LBB0_14
; %bb.13:
	v_mul_f32_e32 v101, 0xbe750f2a, v55
	v_mul_f32_e32 v102, 0x3eedf032, v56
	;; [unrolled: 1-line block ×5, first 2 shown]
	v_fmamk_f32 v99, v41, 0xbf788fa5, v101
	v_fmamk_f32 v108, v43, 0x3f62ad3f, v102
	v_mul_f32_e32 v106, 0x3f62ad3f, v52
	v_fmamk_f32 v100, v15, 0x3e750f2a, v103
	v_fmamk_f32 v111, v45, 0xbf3f9e67, v104
	v_add_f32_e32 v99, v1, v99
	v_mul_f32_e32 v107, 0xbf3f9e67, v53
	v_fmamk_f32 v110, v42, 0xbeedf032, v106
	v_add_f32_e32 v100, v0, v100
	v_fmamk_f32 v113, v48, 0x3f116cb1, v105
	v_add_f32_e32 v99, v99, v108
	v_mul_f32_e32 v108, 0xbf6f5d39, v63
	v_fmamk_f32 v112, v44, 0x3f29c268, v107
	v_add_f32_e32 v100, v100, v110
	v_mul_f32_e32 v110, 0xbf29c268, v55
	v_add_f32_e32 v99, v99, v111
	v_fmamk_f32 v115, v50, 0xbeb58ec6, v108
	v_mul_f32_e32 v117, 0xbf52af12, v62
	v_add_f32_e32 v100, v100, v112
	v_fmamk_f32 v112, v41, 0xbf3f9e67, v110
	v_add_f32_e32 v99, v99, v113
	v_mul_f32_e32 v113, 0x3f7e222b, v56
	v_mul_f32_e32 v121, 0x3df6dbef, v52
	;; [unrolled: 1-line block ×3, first 2 shown]
	v_add_f32_e32 v112, v1, v112
	v_add_f32_e32 v99, v99, v115
	v_mul_f32_e32 v115, 0xbf3f9e67, v51
	v_fmamk_f32 v116, v43, 0x3df6dbef, v113
	v_mul_f32_e32 v122, 0x3e750f2a, v59
	v_fmamk_f32 v123, v42, 0xbf7e222b, v121
	;; [unrolled: 2-line block ×3, first 2 shown]
	v_add_f32_e32 v112, v112, v116
	v_fmamk_f32 v116, v45, 0x3f116cb1, v117
	v_mul_f32_e32 v111, 0xbeb58ec6, v57
	v_fmamk_f32 v114, v46, 0xbf52af12, v109
	v_add_f32_e32 v120, v0, v120
	v_mul_f32_e32 v125, 0x3eedf032, v63
	v_add_f32_e32 v112, v112, v116
	v_fmamk_f32 v116, v48, 0xbf788fa5, v122
	v_mul_f32_e32 v126, 0xbf788fa5, v54
	v_add_f32_e32 v120, v120, v123
	v_fmamk_f32 v123, v44, 0x3f52af12, v124
	v_add_f32_e32 v100, v100, v114
	v_fmamk_f32 v114, v47, 0x3f6f5d39, v111
	v_mul_f32_e32 v118, 0x3f7e222b, v67
	v_mul_f32_e32 v119, 0x3df6dbef, v60
	v_add_f32_e32 v112, v112, v116
	v_fmamk_f32 v116, v50, 0x3f62ad3f, v125
	v_add_f32_e32 v120, v120, v123
	v_fmamk_f32 v123, v46, 0xbe750f2a, v126
	v_mul_f32_e32 v128, 0x3f62ad3f, v57
	v_add_f32_e32 v114, v100, v114
	v_fmamk_f32 v100, v4, 0x3df6dbef, v118
	v_fmamk_f32 v127, v49, 0xbf7e222b, v119
	v_add_f32_e32 v112, v112, v116
	v_add_f32_e32 v116, v120, v123
	v_fmamk_f32 v120, v47, 0xbeedf032, v128
	v_mul_f32_e32 v123, 0xbeb58ec6, v41
	v_add_f32_e32 v100, v99, v100
	v_mul_f32_e32 v129, 0xbf6f5d39, v67
	v_add_f32_e32 v99, v114, v127
	v_mul_f32_e32 v114, 0xbf3f9e67, v43
	v_add_f32_e32 v116, v116, v120
	v_add_f32_e32 v120, v123, v97
	v_fmamk_f32 v130, v4, 0xbeb58ec6, v129
	v_mul_f32_e32 v123, 0x3f62ad3f, v45
	v_add_f32_e32 v98, v114, v98
	v_mul_f32_e32 v114, 0xbf6f5d39, v15
	v_add_f32_e32 v120, v1, v120
	v_add_f32_e32 v97, v112, v130
	v_mul_f32_e32 v130, 0x3f29c268, v42
	v_add_f32_e32 v94, v123, v94
	v_sub_f32_e32 v88, v88, v114
	v_add_f32_e32 v98, v120, v98
	v_mul_f32_e32 v114, 0x3df6dbef, v48
	v_sub_f32_e32 v90, v90, v130
	v_mul_f32_e32 v120, 0x3eedf032, v44
	v_add_f32_e32 v88, v0, v88
	v_add_f32_e32 v94, v98, v94
	v_add_f32_e32 v95, v114, v95
	v_mul_f32_e32 v98, 0xbf788fa5, v50
	v_add_f32_e32 v8, v1, v8
	v_add_f32_e32 v88, v88, v90
	v_sub_f32_e32 v90, v91, v120
	v_mul_f32_e32 v91, 0xbf7e222b, v46
	v_add_f32_e32 v94, v94, v95
	v_add_f32_e32 v95, v98, v96
	v_mul_f32_e32 v62, 0xbf7e222b, v62
	v_add_f32_e32 v88, v88, v90
	v_sub_f32_e32 v90, v92, v91
	v_mul_f32_e32 v91, 0x3e750f2a, v47
	v_add_f32_e32 v92, v94, v95
	v_mul_f32_e32 v94, 0x3df6dbef, v41
	v_mul_f32_e32 v95, 0x3f116cb1, v4
	v_add_f32_e32 v88, v88, v90
	v_sub_f32_e32 v89, v89, v91
	v_mul_f32_e32 v90, 0xbf788fa5, v43
	v_add_f32_e32 v85, v94, v85
	v_add_f32_e32 v91, v95, v93
	v_mul_f32_e32 v93, 0xbf7e222b, v15
	v_add_f32_e32 v88, v88, v89
	v_add_f32_e32 v82, v90, v82
	;; [unrolled: 1-line block ×3, first 2 shown]
	v_mul_f32_e32 v89, 0xbeb58ec6, v45
	v_sub_f32_e32 v76, v76, v93
	v_mul_f32_e32 v90, 0xbe750f2a, v42
	v_add_f32_e32 v6, v8, v6
	v_add_f32_e32 v82, v85, v82
	;; [unrolled: 1-line block ×3, first 2 shown]
	v_mul_f32_e32 v85, 0x3f62ad3f, v48
	v_sub_f32_e32 v75, v75, v90
	v_add_f32_e32 v76, v0, v76
	v_mul_f32_e32 v89, 0x3f6f5d39, v44
	v_add_f32_e32 v81, v82, v81
	v_add_f32_e32 v82, v85, v83
	v_mul_f32_e32 v83, 0x3f116cb1, v50
	v_add_f32_e32 v75, v76, v75
	v_sub_f32_e32 v77, v77, v89
	v_mul_f32_e32 v85, 0x3eedf032, v46
	v_add_f32_e32 v81, v81, v82
	v_add_f32_e32 v82, v83, v84
	v_mul_f32_e32 v83, 0x3f116cb1, v41
	v_add_f32_e32 v77, v75, v77
	v_sub_f32_e32 v79, v79, v85
	v_mul_f32_e32 v84, 0xbf788fa5, v45
	v_add_f32_e32 v81, v81, v82
	v_mul_f32_e32 v82, 0xbf52af12, v47
	v_add_f32_e32 v64, v83, v64
	v_add_f32_e32 v77, v77, v79
	v_mul_f32_e32 v79, 0xbeb58ec6, v43
	v_add_f32_e32 v70, v84, v70
	v_sub_f32_e32 v78, v78, v82
	v_mul_f32_e32 v82, 0xbf52af12, v15
	v_add_f32_e32 v64, v1, v64
	v_add_f32_e32 v68, v79, v68
	v_mul_f32_e32 v79, 0xbf6f5d39, v42
	v_add_f32_e32 v77, v77, v78
	v_sub_f32_e32 v58, v58, v82
	v_mul_f32_e32 v82, 0xbf3f9e67, v48
	v_add_f32_e32 v64, v64, v68
	v_mul_f32_e32 v68, 0xbf29c268, v49
	v_mul_f32_e32 v78, 0xbe750f2a, v44
	v_add_f32_e32 v58, v0, v58
	v_sub_f32_e32 v61, v61, v79
	v_add_f32_e32 v64, v64, v70
	v_sub_f32_e32 v68, v80, v68
	v_mul_f32_e32 v70, 0x3df6dbef, v50
	v_add_f32_e32 v82, v82, v71
	v_mul_f32_e32 v84, 0x3f29c268, v46
	v_mul_f32_e32 v85, 0x3f62ad3f, v4
	v_add_f32_e32 v58, v58, v61
	v_sub_f32_e32 v61, v65, v78
	v_add_f32_e32 v64, v64, v82
	v_add_f32_e32 v65, v70, v73
	;; [unrolled: 1-line block ×3, first 2 shown]
	v_mul_f32_e32 v68, 0xbeedf032, v55
	v_mul_f32_e32 v80, 0x3f7e222b, v47
	v_add_f32_e32 v55, v58, v61
	v_sub_f32_e32 v58, v66, v84
	v_add_f32_e32 v61, v64, v65
	v_add_f32_e32 v64, v85, v74
	v_fmamk_f32 v65, v41, 0x3f62ad3f, v68
	v_mul_f32_e32 v66, 0xbf52af12, v56
	v_mul_f32_e32 v79, 0x3eedf032, v49
	v_add_f32_e32 v55, v55, v58
	v_sub_f32_e32 v58, v69, v80
	v_add_f32_e32 v56, v61, v64
	v_add_f32_e32 v61, v1, v65
	v_fmamk_f32 v64, v43, 0x3f116cb1, v66
	v_add_f32_e32 v7, v0, v7
	v_add_f32_e32 v55, v55, v58
	v_sub_f32_e32 v58, v72, v79
	v_mul_f32_e32 v59, 0xbf6f5d39, v59
	v_add_f32_e32 v61, v61, v64
	v_fmamk_f32 v64, v45, 0x3df6dbef, v62
	v_add_f32_e32 v3, v6, v3
	v_add_f32_e32 v5, v7, v5
	;; [unrolled: 1-line block ×3, first 2 shown]
	v_fmamk_f32 v58, v48, 0xbeb58ec6, v59
	v_add_f32_e32 v8, v61, v64
	v_mul_f32_e32 v61, 0xbf29c268, v63
	v_mul_f32_e32 v51, 0x3f62ad3f, v51
	v_add_f32_e32 v3, v3, v31
	v_add_f32_e32 v2, v5, v2
	;; [unrolled: 1-line block ×3, first 2 shown]
	v_fmamk_f32 v7, v50, 0xbf3f9e67, v61
	v_fmamk_f32 v5, v15, 0x3eedf032, v51
	v_mul_f32_e32 v31, 0x3f116cb1, v52
	v_add_f32_e32 v3, v3, v29
	v_add_f32_e32 v2, v2, v30
	;; [unrolled: 1-line block ×4, first 2 shown]
	v_fmamk_f32 v7, v42, 0x3f52af12, v31
	v_mul_f32_e32 v29, 0x3df6dbef, v53
	v_add_f32_e32 v3, v3, v14
	v_add_f32_e32 v2, v2, v28
	v_mul_f32_e32 v14, 0xbe750f2a, v67
	v_add_f32_e32 v5, v5, v7
	v_fmamk_f32 v7, v44, 0x3f7e222b, v29
	v_add_f32_e32 v3, v3, v27
	v_add_f32_e32 v2, v2, v13
	v_mul_f32_e32 v13, 0xbeb58ec6, v54
	v_fmamk_f32 v8, v4, 0xbf788fa5, v14
	v_add_f32_e32 v5, v5, v7
	v_add_f32_e32 v7, v37, v3
	;; [unrolled: 1-line block ×3, first 2 shown]
	v_fmamk_f32 v26, v46, 0x3f6f5d39, v13
	v_mul_f32_e32 v27, 0xbf3f9e67, v57
	v_add_f32_e32 v3, v6, v8
	v_add_f32_e32 v6, v35, v7
	;; [unrolled: 1-line block ×4, first 2 shown]
	v_fmamk_f32 v7, v47, 0x3f29c268, v27
	v_mul_f32_e32 v26, 0xbf788fa5, v60
	v_add_f32_e32 v6, v33, v6
	v_add_f32_e32 v2, v34, v2
	v_fma_f32 v8, 0xbf788fa5, v41, -v101
	v_add_f32_e32 v5, v5, v7
	v_fmamk_f32 v7, v49, 0x3e750f2a, v26
	v_add_f32_e32 v6, v12, v6
	v_add_f32_e32 v12, v32, v2
	;; [unrolled: 1-line block ×3, first 2 shown]
	v_fma_f32 v28, 0x3f62ad3f, v43, -v102
	v_add_f32_e32 v2, v5, v7
	v_fmac_f32_e32 v103, 0xbe750f2a, v15
	v_add_f32_e32 v5, v11, v12
	v_add_f32_e32 v6, v10, v6
	;; [unrolled: 1-line block ×3, first 2 shown]
	v_fma_f32 v8, 0xbf3f9e67, v45, -v104
	v_add_f32_e32 v10, v0, v103
	v_fmac_f32_e32 v106, 0x3eedf032, v42
	v_add_f32_e32 v5, v9, v5
	v_fma_f32 v9, 0xbf3f9e67, v41, -v110
	v_add_f32_e32 v7, v7, v8
	v_fma_f32 v8, 0x3f116cb1, v48, -v105
	v_add_f32_e32 v10, v10, v106
	v_fmac_f32_e32 v107, 0xbf29c268, v44
	v_add_f32_e32 v9, v1, v9
	v_fma_f32 v11, 0x3df6dbef, v43, -v113
	v_add_f32_e32 v7, v7, v8
	;; [unrolled: 6-line block ×3, first 2 shown]
	v_fma_f32 v8, 0x3df6dbef, v4, -v118
	v_add_f32_e32 v10, v10, v109
	v_fmac_f32_e32 v111, 0xbf6f5d39, v47
	v_add_f32_e32 v9, v9, v11
	v_fma_f32 v11, 0xbf788fa5, v48, -v122
	v_fmac_f32_e32 v115, 0xbf29c268, v15
	v_add_f32_e32 v8, v7, v8
	v_add_f32_e32 v7, v10, v111
	v_fma_f32 v10, 0x3f62ad3f, v50, -v125
	v_add_f32_e32 v9, v9, v11
	v_add_f32_e32 v11, v0, v115
	v_fmac_f32_e32 v121, 0x3f7e222b, v42
	v_fma_f32 v12, 0x3f62ad3f, v41, -v68
	v_fmac_f32_e32 v51, 0xbeedf032, v15
	v_add_f32_e32 v9, v9, v10
	v_fmac_f32_e32 v31, 0xbf52af12, v42
	v_add_f32_e32 v10, v11, v121
	v_add_f32_e32 v1, v1, v12
	v_fma_f32 v11, 0x3f116cb1, v43, -v66
	v_add_f32_e32 v0, v0, v51
	v_fmac_f32_e32 v124, 0xbf52af12, v44
	v_fmac_f32_e32 v29, 0xbf7e222b, v44
	;; [unrolled: 1-line block ×3, first 2 shown]
	v_add_f32_e32 v1, v1, v11
	v_fma_f32 v11, 0x3df6dbef, v45, -v62
	v_add_f32_e32 v0, v0, v31
	v_add_f32_e32 v10, v10, v124
	v_fmac_f32_e32 v13, 0xbf6f5d39, v46
	v_mul_f32_e32 v83, 0xbf3f9e67, v4
	v_add_f32_e32 v1, v1, v11
	v_fma_f32 v11, 0xbeb58ec6, v48, -v59
	v_add_f32_e32 v0, v0, v29
	v_mul_f32_e32 v112, 0xbeb58ec6, v60
	v_mul_f32_e32 v93, 0x3f52af12, v49
	v_add_f32_e32 v10, v10, v126
	v_fmac_f32_e32 v128, 0x3eedf032, v47
	v_add_f32_e32 v1, v1, v11
	v_fma_f32 v11, 0xbf3f9e67, v50, -v61
	v_add_f32_e32 v0, v0, v13
	v_fmac_f32_e32 v27, 0xbf29c268, v47
	v_mul_u32_u24_e32 v13, 0x68, v39
	v_add_f32_e32 v83, v83, v86
	v_fmamk_f32 v127, v49, 0x3f6f5d39, v112
	v_sub_f32_e32 v87, v87, v93
	v_fmac_f32_e32 v119, 0x3f7e222b, v49
	v_fma_f32 v12, 0xbeb58ec6, v4, -v129
	v_add_f32_e32 v10, v10, v128
	v_fmac_f32_e32 v112, 0xbf6f5d39, v49
	v_add_f32_e32 v11, v1, v11
	v_fma_f32 v4, 0xbf788fa5, v4, -v14
	v_add_f32_e32 v14, v0, v27
	v_fmac_f32_e32 v26, 0xbe750f2a, v49
	v_add3_u32 v13, 0, v13, v40
	v_add_f32_e32 v71, v81, v83
	v_add_f32_e32 v96, v116, v127
	;; [unrolled: 1-line block ×9, first 2 shown]
	ds_write2_b64 v13, v[5:6], v[2:3] offset1:1
	ds_write2_b64 v13, v[55:56], v[70:71] offset0:2 offset1:3
	ds_write2_b64 v13, v[75:76], v[96:97] offset0:4 offset1:5
	;; [unrolled: 1-line block ×5, first 2 shown]
	ds_write_b64 v13, v[9:10] offset:96
.LBB0_14:
	s_or_b32 exec_lo, exec_lo, s1
	v_lshlrev_b32_e32 v0, 3, v39
	s_waitcnt lgkmcnt(0)
	s_barrier
	buffer_gl0_inv
	v_cmp_gt_u32_e64 s0, 26, v39
	v_add3_u32 v28, 0, v0, v40
	v_add3_u32 v29, 0, v40, v0
	v_add_nc_u32_e32 v4, 0x400, v28
	v_add_nc_u32_e32 v5, 0x800, v28
	ds_read_b64 v[26:27], v29
	ds_read2_b64 v[12:15], v28 offset0:143 offset1:182
	ds_read2_b64 v[0:3], v28 offset0:39 offset1:78
	;; [unrolled: 1-line block ×4, first 2 shown]
	s_and_saveexec_b32 s1, s0
	s_cbranch_execz .LBB0_16
; %bb.15:
	v_add_nc_u32_e32 v20, 0x200, v28
	ds_read2_b64 v[22:25], v20 offset0:53 offset1:196
	ds_read_b64 v[20:21], v28 offset:3224
.LBB0_16:
	s_or_b32 exec_lo, exec_lo, s1
	v_and_b32_e32 v30, 0xff, v39
	v_add_nc_u16 v31, v39, 39
	v_add_nc_u16 v36, v39, 0x4e
	v_mul_lo_u16 v30, 0x4f, v30
	v_and_b32_e32 v32, 0xff, v31
	v_and_b32_e32 v33, 0xff, v36
	v_lshrrev_b16 v37, 10, v30
	v_mul_lo_u16 v32, 0x4f, v32
	v_mul_lo_u16 v33, 0x4f, v33
	v_mov_b32_e32 v30, 4
	v_mul_lo_u16 v34, v37, 13
	v_lshrrev_b16 v49, 10, v32
	v_lshrrev_b16 v51, 10, v33
	v_and_b32_e32 v37, 0xffff, v37
	v_sub_nc_u16 v50, v39, v34
	v_mul_lo_u16 v32, v49, 13
	v_mul_lo_u16 v41, v51, 13
	v_mad_u32_u24 v37, 0x138, v37, 0
	v_and_b32_e32 v49, 0xffff, v49
	v_lshlrev_b32_sdwa v33, v30, v50 dst_sel:DWORD dst_unused:UNUSED_PAD src0_sel:DWORD src1_sel:BYTE_0
	v_sub_nc_u16 v52, v31, v32
	v_sub_nc_u16 v36, v36, v41
	v_and_b32_e32 v51, 0xffff, v51
	v_mad_u32_u24 v49, 0x138, v49, 0
	global_load_dwordx4 v[32:35], v33, s[12:13]
	v_lshlrev_b32_sdwa v31, v30, v52 dst_sel:DWORD dst_unused:UNUSED_PAD src0_sel:DWORD src1_sel:BYTE_0
	v_lshlrev_b32_sdwa v45, v30, v36 dst_sel:DWORD dst_unused:UNUSED_PAD src0_sel:DWORD src1_sel:BYTE_0
	v_mad_u32_u24 v51, 0x138, v51, 0
	s_clause 0x1
	global_load_dwordx4 v[41:44], v31, s[12:13]
	global_load_dwordx4 v[45:48], v45, s[12:13]
	v_mov_b32_e32 v31, 3
	s_waitcnt vmcnt(0) lgkmcnt(0)
	s_barrier
	buffer_gl0_inv
	v_lshlrev_b32_sdwa v50, v31, v50 dst_sel:DWORD dst_unused:UNUSED_PAD src0_sel:DWORD src1_sel:BYTE_0
	v_lshlrev_b32_sdwa v36, v31, v36 dst_sel:DWORD dst_unused:UNUSED_PAD src0_sel:DWORD src1_sel:BYTE_0
	v_add3_u32 v37, v37, v50, v40
	v_lshlrev_b32_sdwa v50, v31, v52 dst_sel:DWORD dst_unused:UNUSED_PAD src0_sel:DWORD src1_sel:BYTE_0
	v_add3_u32 v36, v51, v36, v40
	v_add3_u32 v49, v49, v50, v40
	v_mul_f32_e32 v50, v33, v13
	v_mul_f32_e32 v33, v33, v12
	;; [unrolled: 1-line block ×4, first 2 shown]
	v_fma_f32 v12, v32, v12, -v50
	v_fmac_f32_e32 v33, v32, v13
	v_fma_f32 v10, v34, v10, -v52
	v_fmac_f32_e32 v35, v34, v11
	v_mul_f32_e32 v11, v42, v15
	v_mul_f32_e32 v13, v42, v14
	;; [unrolled: 1-line block ×8, first 2 shown]
	v_fma_f32 v11, v41, v14, -v11
	v_fmac_f32_e32 v13, v41, v15
	v_fma_f32 v14, v43, v4, -v32
	v_fmac_f32_e32 v34, v43, v5
	v_add_f32_e32 v4, v26, v12
	v_fma_f32 v8, v45, v8, -v42
	v_fmac_f32_e32 v44, v45, v9
	v_fma_f32 v15, v47, v6, -v46
	v_fmac_f32_e32 v48, v47, v7
	v_add_f32_e32 v5, v12, v10
	v_add_f32_e32 v9, v33, v35
	v_sub_f32_e32 v7, v33, v35
	v_add_f32_e32 v6, v27, v33
	v_sub_f32_e32 v12, v12, v10
	v_add_f32_e32 v4, v4, v10
	v_add_f32_e32 v10, v11, v14
	v_sub_f32_e32 v32, v13, v34
	v_add_f32_e32 v33, v1, v13
	v_add_f32_e32 v13, v13, v34
	;; [unrolled: 1-line block ×3, first 2 shown]
	v_sub_f32_e32 v42, v44, v48
	v_add_f32_e32 v43, v3, v44
	v_add_f32_e32 v44, v44, v48
	v_fma_f32 v26, -0.5, v5, v26
	v_fmac_f32_e32 v27, -0.5, v9
	v_add_f32_e32 v5, v6, v35
	v_add_f32_e32 v9, v0, v11
	v_sub_f32_e32 v35, v11, v14
	v_fma_f32 v0, -0.5, v10, v0
	v_fma_f32 v1, -0.5, v13, v1
	v_add_f32_e32 v11, v2, v8
	v_sub_f32_e32 v45, v8, v15
	v_fma_f32 v2, -0.5, v41, v2
	v_fmac_f32_e32 v3, -0.5, v44
	v_fmamk_f32 v6, v7, 0x3f5db3d7, v26
	v_fmac_f32_e32 v26, 0xbf5db3d7, v7
	v_fmamk_f32 v7, v12, 0xbf5db3d7, v27
	v_fmac_f32_e32 v27, 0x3f5db3d7, v12
	v_add_f32_e32 v8, v9, v14
	v_add_f32_e32 v9, v33, v34
	v_fmamk_f32 v12, v32, 0x3f5db3d7, v0
	v_fmamk_f32 v13, v35, 0xbf5db3d7, v1
	v_fmac_f32_e32 v0, 0xbf5db3d7, v32
	v_fmac_f32_e32 v1, 0x3f5db3d7, v35
	v_add_f32_e32 v10, v11, v15
	v_add_f32_e32 v11, v43, v48
	v_fmamk_f32 v14, v42, 0x3f5db3d7, v2
	v_fmamk_f32 v15, v45, 0xbf5db3d7, v3
	v_fmac_f32_e32 v2, 0xbf5db3d7, v42
	v_fmac_f32_e32 v3, 0x3f5db3d7, v45
	ds_write2_b64 v37, v[4:5], v[6:7] offset1:13
	ds_write_b64 v37, v[26:27] offset:208
	ds_write2_b64 v49, v[8:9], v[12:13] offset1:13
	ds_write_b64 v49, v[0:1] offset:208
	;; [unrolled: 2-line block ×3, first 2 shown]
	s_and_saveexec_b32 s1, s0
	s_cbranch_execz .LBB0_18
; %bb.17:
	v_add_nc_u16 v0, v39, 0x75
	v_and_b32_e32 v1, 0xff, v0
	v_mul_lo_u16 v1, 0x4f, v1
	v_lshrrev_b16 v4, 10, v1
	v_mul_lo_u16 v1, v4, 13
	v_and_b32_e32 v4, 0xffff, v4
	v_sub_nc_u16 v5, v0, v1
	v_mad_u32_u24 v4, 0x138, v4, 0
	v_lshlrev_b32_sdwa v0, v30, v5 dst_sel:DWORD dst_unused:UNUSED_PAD src0_sel:DWORD src1_sel:BYTE_0
	global_load_dwordx4 v[0:3], v0, s[12:13]
	s_waitcnt vmcnt(0)
	v_mul_f32_e32 v6, v25, v1
	v_mul_f32_e32 v7, v24, v1
	;; [unrolled: 1-line block ×4, first 2 shown]
	v_lshlrev_b32_sdwa v3, v31, v5 dst_sel:DWORD dst_unused:UNUSED_PAD src0_sel:DWORD src1_sel:BYTE_0
	v_fma_f32 v5, v24, v0, -v6
	v_fmac_f32_e32 v7, v25, v0
	v_fmac_f32_e32 v8, v21, v2
	v_fma_f32 v2, v20, v2, -v1
	v_add3_u32 v6, v4, v3, v40
	v_add_f32_e32 v9, v23, v7
	v_add_f32_e32 v0, v7, v8
	;; [unrolled: 1-line block ×3, first 2 shown]
	v_sub_f32_e32 v4, v5, v2
	v_add_f32_e32 v5, v22, v5
	v_sub_f32_e32 v7, v7, v8
	v_fma_f32 v1, -0.5, v0, v23
	v_fma_f32 v0, -0.5, v3, v22
	v_add_f32_e32 v3, v9, v8
	v_add_f32_e32 v2, v5, v2
	v_fmamk_f32 v5, v4, 0x3f5db3d7, v1
	v_fmac_f32_e32 v1, 0xbf5db3d7, v4
	v_fmamk_f32 v4, v7, 0xbf5db3d7, v0
	v_fmac_f32_e32 v0, 0x3f5db3d7, v7
	ds_write2_b64 v6, v[2:3], v[0:1] offset1:13
	ds_write_b64 v6, v[4:5] offset:208
.LBB0_18:
	s_or_b32 exec_lo, exec_lo, s1
	s_waitcnt lgkmcnt(0)
	s_barrier
	buffer_gl0_inv
	s_and_saveexec_b32 s0, vcc_lo
	s_cbranch_execz .LBB0_20
; %bb.19:
	v_mul_u32_u24_e32 v0, 10, v39
	v_mul_lo_u32 v55, s5, v18
	v_mul_lo_u32 v56, s4, v19
	v_mad_u64_u32 v[18:19], null, s4, v18, 0
	v_lshlrev_b32_e32 v4, 3, v0
	v_add_nc_u32_e32 v59, 39, v38
	v_add_nc_u32_e32 v60, 0x4e, v38
	;; [unrolled: 1-line block ×3, first 2 shown]
	v_lshlrev_b64 v[47:48], 3, v[16:17]
	s_clause 0x4
	global_load_dwordx4 v[0:3], v4, s[12:13] offset:272
	global_load_dwordx4 v[6:9], v4, s[12:13] offset:208
	;; [unrolled: 1-line block ×5, first 2 shown]
	ds_read2_b64 v[30:33], v28 offset0:39 offset1:78
	ds_read_b64 v[4:5], v29
	ds_read2_b64 v[34:37], v28 offset0:117 offset1:156
	ds_read2_b64 v[39:42], v28 offset0:195 offset1:234
	v_mad_u64_u32 v[28:29], null, s2, v38, 0
	v_mad_u64_u32 v[49:50], null, s2, v59, 0
	;; [unrolled: 1-line block ×3, first 2 shown]
	ds_read2_b64 v[14:17], v43 offset0:95 offset1:134
	ds_read2_b64 v[43:46], v43 offset0:17 offset1:56
	v_add3_u32 v19, v19, v56, v55
	v_add_nc_u32_e32 v61, 0x75, v38
	v_add_nc_u32_e32 v62, 0x9c, v38
	v_lshlrev_b64 v[18:19], 3, v[18:19]
	v_mad_u64_u32 v[53:54], null, s2, v61, 0
	v_mad_u64_u32 v[55:56], null, s2, v62, 0
	s_waitcnt lgkmcnt(5)
	v_mad_u64_u32 v[57:58], null, s3, v38, v[29:30]
	v_mov_b32_e32 v29, v50
	v_mov_b32_e32 v50, v52
	v_mad_u64_u32 v[58:59], null, s3, v59, v[29:30]
	v_mad_u64_u32 v[59:60], null, s3, v60, v[50:51]
	v_mov_b32_e32 v29, v57
	v_add_co_u32 v50, vcc_lo, s10, v18
	v_add_co_ci_u32_e32 v52, vcc_lo, s11, v19, vcc_lo
	v_lshlrev_b64 v[18:19], 3, v[28:29]
	v_add_co_u32 v29, vcc_lo, v50, v47
	v_add_co_ci_u32_e32 v47, vcc_lo, v52, v48, vcc_lo
	v_mov_b32_e32 v50, v58
	v_add_co_u32 v18, vcc_lo, v29, v18
	v_add_co_ci_u32_e32 v19, vcc_lo, v47, v19, vcc_lo
	s_waitcnt vmcnt(4) lgkmcnt(1)
	v_mul_f32_e32 v28, v2, v17
	s_waitcnt vmcnt(3)
	v_mul_f32_e32 v48, v6, v31
	v_mul_f32_e32 v31, v7, v31
	;; [unrolled: 1-line block ×7, first 2 shown]
	s_waitcnt vmcnt(2) lgkmcnt(0)
	v_mul_f32_e32 v58, v12, v46
	s_waitcnt vmcnt(1)
	v_mul_f32_e32 v60, v20, v35
	v_mul_f32_e32 v35, v21, v35
	;; [unrolled: 1-line block ×7, first 2 shown]
	s_waitcnt vmcnt(0)
	v_mul_f32_e32 v65, v26, v42
	v_mul_f32_e32 v66, v24, v40
	;; [unrolled: 1-line block ×4, first 2 shown]
	v_fmac_f32_e32 v28, v3, v16
	v_fmac_f32_e32 v48, v7, v30
	v_fma_f32 v3, v6, v30, -v31
	v_fma_f32 v16, v16, v2, -v17
	v_fmac_f32_e32 v52, v1, v14
	v_fmac_f32_e32 v57, v9, v32
	v_fma_f32 v1, v8, v32, -v33
	v_fma_f32 v14, v14, v0, -v15
	v_fmac_f32_e32 v58, v13, v45
	v_fmac_f32_e32 v60, v21, v34
	v_fma_f32 v0, v20, v34, -v35
	v_fma_f32 v12, v45, v12, -v46
	v_fmac_f32_e32 v63, v11, v43
	v_fmac_f32_e32 v64, v23, v36
	v_fma_f32 v2, v22, v36, -v37
	v_fma_f32 v6, v43, v10, -v44
	v_fmac_f32_e32 v65, v27, v41
	v_fmac_f32_e32 v66, v25, v39
	v_fma_f32 v7, v24, v39, -v40
	v_fma_f32 v8, v41, v26, -v42
	v_add_f32_e32 v9, v28, v48
	v_sub_f32_e32 v10, v3, v16
	v_add_f32_e32 v24, v16, v3
	v_sub_f32_e32 v25, v48, v28
	v_add_f32_e32 v36, v48, v5
	v_add_f32_e32 v3, v3, v4
	;; [unrolled: 1-line block ×3, first 2 shown]
	v_sub_f32_e32 v13, v1, v14
	v_add_f32_e32 v15, v58, v60
	v_sub_f32_e32 v17, v0, v12
	v_add_f32_e32 v20, v63, v64
	;; [unrolled: 2-line block ×4, first 2 shown]
	v_sub_f32_e32 v27, v57, v52
	v_sub_f32_e32 v31, v60, v58
	;; [unrolled: 1-line block ×4, first 2 shown]
	v_mul_f32_e32 v37, 0xbf75a155, v9
	v_mul_f32_e32 v43, 0xbe903f40, v25
	;; [unrolled: 1-line block ×7, first 2 shown]
	v_add_f32_e32 v36, v36, v57
	v_add_f32_e32 v1, v3, v1
	;; [unrolled: 1-line block ×5, first 2 shown]
	v_mul_f32_e32 v39, 0x3f575c64, v11
	v_mul_f32_e32 v40, 0xbf27a4f4, v15
	;; [unrolled: 1-line block ×43, first 2 shown]
	v_fmamk_f32 v3, v10, 0x3e903f40, v37
	v_fmamk_f32 v105, v24, 0xbf75a155, v43
	v_fmac_f32_e32 v37, 0xbe903f40, v10
	v_fma_f32 v10, 0xbf75a155, v24, -v43
	v_fmamk_f32 v43, v9, 0xbf27a4f4, v67
	v_fma_f32 v110, 0xbf27a4f4, v24, -v72
	v_fmamk_f32 v115, v9, 0xbe11bafb, v77
	v_fma_f32 v120, 0xbe11bafb, v24, -v82
	v_fma_f32 v130, 0x3ed4b147, v24, -v92
	v_add_f32_e32 v36, v36, v60
	v_add_f32_e32 v0, v1, v0
	v_fmamk_f32 v57, v13, 0xbf0a6770, v39
	v_fmamk_f32 v102, v17, 0x3f4178ce, v40
	;; [unrolled: 1-line block ×8, first 2 shown]
	v_fmac_f32_e32 v39, 0x3f0a6770, v13
	v_fmac_f32_e32 v40, 0xbf4178ce, v17
	v_fmac_f32_e32 v41, 0x3f68dda4, v21
	v_fmac_f32_e32 v42, 0xbf7d64f0, v23
	v_fma_f32 v13, 0x3f575c64, v26, -v44
	v_fma_f32 v17, 0xbf27a4f4, v30, -v45
	v_fma_f32 v21, 0x3ed4b147, v32, -v46
	v_fma_f32 v23, 0xbe11bafb, v34, -v48
	v_fmamk_f32 v44, v11, 0xbe11bafb, v68
	v_fmamk_f32 v45, v15, 0x3f575c64, v69
	v_fmamk_f32 v46, v20, 0xbf75a155, v70
	v_fmamk_f32 v48, v22, 0x3ed4b147, v71
	v_fma_f32 v111, 0xbe11bafb, v26, -v73
	v_fma_f32 v112, 0x3f575c64, v30, -v74
	v_fma_f32 v113, 0xbf75a155, v32, -v75
	v_fma_f32 v114, 0x3ed4b147, v34, -v76
	v_fmamk_f32 v116, v11, 0xbf75a155, v78
	v_fmamk_f32 v117, v15, 0x3ed4b147, v79
	v_fmamk_f32 v118, v20, 0x3f575c64, v80
	v_fmamk_f32 v119, v22, 0xbf27a4f4, v81
	;; [unrolled: 8-line block ×3, first 2 shown]
	v_fmamk_f32 v129, v22, 0x3f575c64, v91
	v_fma_f32 v131, 0xbf27a4f4, v26, -v93
	v_fma_f32 v132, 0xbf75a155, v30, -v94
	v_fma_f32 v133, 0xbe11bafb, v32, -v95
	v_fma_f32 v134, 0x3f575c64, v34, -v96
	v_fmamk_f32 v135, v9, 0x3f575c64, v97
	v_fmamk_f32 v60, v11, 0x3ed4b147, v98
	v_fmamk_f32 v1, v15, 0xbe11bafb, v99
	v_fma_f32 v67, 0xbf27a4f4, v9, -v67
	v_fma_f32 v77, 0xbe11bafb, v9, -v77
	;; [unrolled: 1-line block ×4, first 2 shown]
	v_fmamk_f32 v97, v20, 0xbf27a4f4, v100
	v_fma_f32 v68, 0xbe11bafb, v11, -v68
	v_fma_f32 v78, 0xbf75a155, v11, -v78
	;; [unrolled: 1-line block ×4, first 2 shown]
	v_fmamk_f32 v98, v22, 0xbf75a155, v101
	v_fma_f32 v69, 0x3f575c64, v15, -v69
	v_fma_f32 v79, 0x3ed4b147, v15, -v79
	;; [unrolled: 1-line block ×15, first 2 shown]
	v_fmac_f32_e32 v72, 0xbf27a4f4, v24
	v_fmac_f32_e32 v82, 0xbe11bafb, v24
	;; [unrolled: 1-line block ×4, first 2 shown]
	v_fma_f32 v24, 0xbf27a4f4, v32, -v33
	v_fmac_f32_e32 v73, 0xbe11bafb, v26
	v_fmac_f32_e32 v83, 0xbf75a155, v26
	;; [unrolled: 1-line block ×4, first 2 shown]
	v_fma_f32 v26, 0xbf75a155, v34, -v35
	v_fmac_f32_e32 v74, 0x3f575c64, v30
	v_fmac_f32_e32 v75, 0xbf75a155, v32
	;; [unrolled: 1-line block ×12, first 2 shown]
	v_add_f32_e32 v30, v105, v4
	v_add_f32_e32 v32, v37, v5
	;; [unrolled: 1-line block ×82, first 2 shown]
	global_store_dwordx2 v[18:19], v[16:17], off
	v_mad_u64_u32 v[18:19], null, s3, v61, v[54:55]
	v_add_f32_e32 v2, v2, v69
	v_add_f32_e32 v8, v57, v79
	;; [unrolled: 1-line block ×4, first 2 shown]
	v_mov_b32_e32 v19, v56
	v_add_f32_e32 v1, v3, v104
	v_add_f32_e32 v3, v11, v42
	;; [unrolled: 1-line block ×3, first 2 shown]
	v_lshlrev_b64 v[16:17], 3, v[49:50]
	v_add_nc_u32_e32 v30, 0xc3, v38
	v_add_f32_e32 v9, v9, v108
	v_mov_b32_e32 v52, v59
	v_add_f32_e32 v34, v2, v70
	v_add_f32_e32 v41, v8, v80
	;; [unrolled: 1-line block ×5, first 2 shown]
	v_mad_u64_u32 v[26:27], null, s3, v62, v[19:20]
	v_mad_u64_u32 v[27:28], null, s2, v30, 0
	v_add_co_u32 v16, vcc_lo, v29, v16
	v_add_f32_e32 v0, v9, v109
	v_add_f32_e32 v9, v25, v129
	v_add_co_ci_u32_e32 v17, vcc_lo, v47, v17, vcc_lo
	v_lshlrev_b64 v[24:25], 3, v[51:52]
	v_mov_b32_e32 v54, v18
	v_mov_b32_e32 v56, v26
	global_store_dwordx2 v[16:17], v[10:11], off
	v_mov_b32_e32 v10, v28
	v_add_f32_e32 v13, v13, v45
	v_add_co_u32 v18, vcc_lo, v29, v24
	v_add_co_ci_u32_e32 v19, vcc_lo, v47, v25, vcc_lo
	v_lshlrev_b64 v[16:17], 3, v[53:54]
	v_mad_u64_u32 v[10:11], null, s3, v30, v[10:11]
	global_store_dwordx2 v[18:19], v[8:9], off
	v_lshlrev_b64 v[8:9], 3, v[55:56]
	v_add_nc_u32_e32 v18, 0xea, v38
	v_add_f32_e32 v13, v13, v46
	v_add_co_u32 v16, vcc_lo, v29, v16
	v_add_co_ci_u32_e32 v17, vcc_lo, v47, v17, vcc_lo
	v_mov_b32_e32 v28, v10
	v_mad_u64_u32 v[10:11], null, s2, v18, 0
	v_add_co_u32 v8, vcc_lo, v29, v8
	v_add_f32_e32 v5, v13, v48
	v_add_f32_e32 v6, v21, v124
	v_add_co_ci_u32_e32 v9, vcc_lo, v47, v9, vcc_lo
	v_add_nc_u32_e32 v19, 0x111, v38
	v_add_nc_u32_e32 v26, 0x138, v38
	global_store_dwordx2 v[16:17], v[6:7], off
	global_store_dwordx2 v[8:9], v[4:5], off
	v_mov_b32_e32 v8, v11
	v_mad_u64_u32 v[6:7], null, s2, v19, 0
	v_mad_u64_u32 v[16:17], null, s2, v26, 0
	v_mad_u64_u32 v[8:9], null, s3, v18, v[8:9]
	v_lshlrev_b64 v[4:5], 3, v[27:28]
	v_add_nc_u32_e32 v28, 0x15f, v38
	v_add_f32_e32 v60, v72, v83
	v_add_f32_e32 v64, v77, v88
	;; [unrolled: 1-line block ×4, first 2 shown]
	v_mad_u64_u32 v[18:19], null, s3, v19, v[7:8]
	v_add_co_u32 v4, vcc_lo, v29, v4
	v_mov_b32_e32 v7, v17
	v_mad_u64_u32 v[24:25], null, s2, v28, 0
	v_add_nc_u32_e32 v19, 0x186, v38
	v_add_co_ci_u32_e32 v5, vcc_lo, v47, v5, vcc_lo
	v_mov_b32_e32 v11, v8
	v_mad_u64_u32 v[26:27], null, s3, v26, v[7:8]
	v_mad_u64_u32 v[8:9], null, s2, v19, 0
	global_store_dwordx2 v[4:5], v[2:3], off
	v_lshlrev_b64 v[3:4], 3, v[10:11]
	v_mov_b32_e32 v2, v25
	v_mov_b32_e32 v7, v18
	;; [unrolled: 1-line block ×3, first 2 shown]
	v_add_f32_e32 v37, v60, v84
	v_add_f32_e32 v39, v64, v89
	v_mad_u64_u32 v[10:11], null, s3, v28, v[2:3]
	v_mov_b32_e32 v2, v9
	v_add_co_u32 v3, vcc_lo, v29, v3
	v_lshlrev_b64 v[5:6], 3, v[6:7]
	v_lshlrev_b64 v[16:17], 3, v[16:17]
	v_add_co_ci_u32_e32 v4, vcc_lo, v47, v4, vcc_lo
	v_mad_u64_u32 v[18:19], null, s3, v19, v[2:3]
	v_mov_b32_e32 v25, v10
	v_add_co_u32 v5, vcc_lo, v29, v5
	v_add_co_ci_u32_e32 v6, vcc_lo, v47, v6, vcc_lo
	v_lshlrev_b64 v[10:11], 3, v[24:25]
	v_mov_b32_e32 v9, v18
	v_add_co_u32 v16, vcc_lo, v29, v16
	v_add_f32_e32 v37, v37, v85
	v_add_f32_e32 v39, v39, v90
	v_lshlrev_b64 v[7:8], 3, v[8:9]
	v_add_co_ci_u32_e32 v17, vcc_lo, v47, v17, vcc_lo
	v_add_co_u32 v9, vcc_lo, v29, v10
	v_add_co_ci_u32_e32 v10, vcc_lo, v47, v11, vcc_lo
	v_add_f32_e32 v15, v41, v81
	v_add_f32_e32 v14, v37, v86
	v_add_co_u32 v7, vcc_lo, v29, v7
	v_add_f32_e32 v21, v39, v91
	v_add_f32_e32 v23, v43, v22
	;; [unrolled: 1-line block ×3, first 2 shown]
	v_add_co_ci_u32_e32 v8, vcc_lo, v47, v8, vcc_lo
	global_store_dwordx2 v[3:4], v[0:1], off
	global_store_dwordx2 v[5:6], v[12:13], off
	;; [unrolled: 1-line block ×5, first 2 shown]
.LBB0_20:
	s_endpgm
	.section	.rodata,"a",@progbits
	.p2align	6, 0x0
	.amdhsa_kernel fft_rtc_fwd_len429_factors_13_3_11_wgs_117_tpt_39_sp_op_CI_CI_sbrr_dirReg
		.amdhsa_group_segment_fixed_size 0
		.amdhsa_private_segment_fixed_size 0
		.amdhsa_kernarg_size 104
		.amdhsa_user_sgpr_count 6
		.amdhsa_user_sgpr_private_segment_buffer 1
		.amdhsa_user_sgpr_dispatch_ptr 0
		.amdhsa_user_sgpr_queue_ptr 0
		.amdhsa_user_sgpr_kernarg_segment_ptr 1
		.amdhsa_user_sgpr_dispatch_id 0
		.amdhsa_user_sgpr_flat_scratch_init 0
		.amdhsa_user_sgpr_private_segment_size 0
		.amdhsa_wavefront_size32 1
		.amdhsa_uses_dynamic_stack 0
		.amdhsa_system_sgpr_private_segment_wavefront_offset 0
		.amdhsa_system_sgpr_workgroup_id_x 1
		.amdhsa_system_sgpr_workgroup_id_y 0
		.amdhsa_system_sgpr_workgroup_id_z 0
		.amdhsa_system_sgpr_workgroup_info 0
		.amdhsa_system_vgpr_workitem_id 0
		.amdhsa_next_free_vgpr 136
		.amdhsa_next_free_sgpr 31
		.amdhsa_reserve_vcc 1
		.amdhsa_reserve_flat_scratch 0
		.amdhsa_float_round_mode_32 0
		.amdhsa_float_round_mode_16_64 0
		.amdhsa_float_denorm_mode_32 3
		.amdhsa_float_denorm_mode_16_64 3
		.amdhsa_dx10_clamp 1
		.amdhsa_ieee_mode 1
		.amdhsa_fp16_overflow 0
		.amdhsa_workgroup_processor_mode 1
		.amdhsa_memory_ordered 1
		.amdhsa_forward_progress 0
		.amdhsa_shared_vgpr_count 0
		.amdhsa_exception_fp_ieee_invalid_op 0
		.amdhsa_exception_fp_denorm_src 0
		.amdhsa_exception_fp_ieee_div_zero 0
		.amdhsa_exception_fp_ieee_overflow 0
		.amdhsa_exception_fp_ieee_underflow 0
		.amdhsa_exception_fp_ieee_inexact 0
		.amdhsa_exception_int_div_zero 0
	.end_amdhsa_kernel
	.text
.Lfunc_end0:
	.size	fft_rtc_fwd_len429_factors_13_3_11_wgs_117_tpt_39_sp_op_CI_CI_sbrr_dirReg, .Lfunc_end0-fft_rtc_fwd_len429_factors_13_3_11_wgs_117_tpt_39_sp_op_CI_CI_sbrr_dirReg
                                        ; -- End function
	.section	.AMDGPU.csdata,"",@progbits
; Kernel info:
; codeLenInByte = 9216
; NumSgprs: 33
; NumVgprs: 136
; ScratchSize: 0
; MemoryBound: 0
; FloatMode: 240
; IeeeMode: 1
; LDSByteSize: 0 bytes/workgroup (compile time only)
; SGPRBlocks: 4
; VGPRBlocks: 16
; NumSGPRsForWavesPerEU: 33
; NumVGPRsForWavesPerEU: 136
; Occupancy: 7
; WaveLimiterHint : 1
; COMPUTE_PGM_RSRC2:SCRATCH_EN: 0
; COMPUTE_PGM_RSRC2:USER_SGPR: 6
; COMPUTE_PGM_RSRC2:TRAP_HANDLER: 0
; COMPUTE_PGM_RSRC2:TGID_X_EN: 1
; COMPUTE_PGM_RSRC2:TGID_Y_EN: 0
; COMPUTE_PGM_RSRC2:TGID_Z_EN: 0
; COMPUTE_PGM_RSRC2:TIDIG_COMP_CNT: 0
	.text
	.p2alignl 6, 3214868480
	.fill 48, 4, 3214868480
	.type	__hip_cuid_78854e4063426711,@object ; @__hip_cuid_78854e4063426711
	.section	.bss,"aw",@nobits
	.globl	__hip_cuid_78854e4063426711
__hip_cuid_78854e4063426711:
	.byte	0                               ; 0x0
	.size	__hip_cuid_78854e4063426711, 1

	.ident	"AMD clang version 19.0.0git (https://github.com/RadeonOpenCompute/llvm-project roc-6.4.0 25133 c7fe45cf4b819c5991fe208aaa96edf142730f1d)"
	.section	".note.GNU-stack","",@progbits
	.addrsig
	.addrsig_sym __hip_cuid_78854e4063426711
	.amdgpu_metadata
---
amdhsa.kernels:
  - .args:
      - .actual_access:  read_only
        .address_space:  global
        .offset:         0
        .size:           8
        .value_kind:     global_buffer
      - .offset:         8
        .size:           8
        .value_kind:     by_value
      - .actual_access:  read_only
        .address_space:  global
        .offset:         16
        .size:           8
        .value_kind:     global_buffer
      - .actual_access:  read_only
        .address_space:  global
        .offset:         24
        .size:           8
        .value_kind:     global_buffer
      - .actual_access:  read_only
        .address_space:  global
        .offset:         32
        .size:           8
        .value_kind:     global_buffer
      - .offset:         40
        .size:           8
        .value_kind:     by_value
      - .actual_access:  read_only
        .address_space:  global
        .offset:         48
        .size:           8
        .value_kind:     global_buffer
      - .actual_access:  read_only
        .address_space:  global
        .offset:         56
        .size:           8
        .value_kind:     global_buffer
      - .offset:         64
        .size:           4
        .value_kind:     by_value
      - .actual_access:  read_only
        .address_space:  global
        .offset:         72
        .size:           8
        .value_kind:     global_buffer
      - .actual_access:  read_only
        .address_space:  global
        .offset:         80
        .size:           8
        .value_kind:     global_buffer
      - .actual_access:  read_only
        .address_space:  global
        .offset:         88
        .size:           8
        .value_kind:     global_buffer
      - .actual_access:  write_only
        .address_space:  global
        .offset:         96
        .size:           8
        .value_kind:     global_buffer
    .group_segment_fixed_size: 0
    .kernarg_segment_align: 8
    .kernarg_segment_size: 104
    .language:       OpenCL C
    .language_version:
      - 2
      - 0
    .max_flat_workgroup_size: 117
    .name:           fft_rtc_fwd_len429_factors_13_3_11_wgs_117_tpt_39_sp_op_CI_CI_sbrr_dirReg
    .private_segment_fixed_size: 0
    .sgpr_count:     33
    .sgpr_spill_count: 0
    .symbol:         fft_rtc_fwd_len429_factors_13_3_11_wgs_117_tpt_39_sp_op_CI_CI_sbrr_dirReg.kd
    .uniform_work_group_size: 1
    .uses_dynamic_stack: false
    .vgpr_count:     136
    .vgpr_spill_count: 0
    .wavefront_size: 32
    .workgroup_processor_mode: 1
amdhsa.target:   amdgcn-amd-amdhsa--gfx1030
amdhsa.version:
  - 1
  - 2
...

	.end_amdgpu_metadata
